;; amdgpu-corpus repo=zjin-lcf/HeCBench kind=compiled arch=gfx1100 opt=O3
	.text
	.amdgcn_target "amdgcn-amd-amdhsa--gfx1100"
	.amdhsa_code_object_version 6
	.section	.text._Z20fused_dropout_kernelIffjhEvPKT_PS0_PT2_T1_T0_St4pairImmE,"axG",@progbits,_Z20fused_dropout_kernelIffjhEvPKT_PS0_PT2_T1_T0_St4pairImmE,comdat
	.protected	_Z20fused_dropout_kernelIffjhEvPKT_PS0_PT2_T1_T0_St4pairImmE ; -- Begin function _Z20fused_dropout_kernelIffjhEvPKT_PS0_PT2_T1_T0_St4pairImmE
	.globl	_Z20fused_dropout_kernelIffjhEvPKT_PS0_PT2_T1_T0_St4pairImmE
	.p2align	8
	.type	_Z20fused_dropout_kernelIffjhEvPKT_PS0_PT2_T1_T0_St4pairImmE,@function
_Z20fused_dropout_kernelIffjhEvPKT_PS0_PT2_T1_T0_St4pairImmE: ; @_Z20fused_dropout_kernelIffjhEvPKT_PS0_PT2_T1_T0_St4pairImmE
; %bb.0:
	s_clause 0x2
	s_load_b32 s2, s[0:1], 0x3c
	s_load_b32 s3, s[0:1], 0x30
	s_load_b64 s[12:13], s[0:1], 0x18
	s_mov_b32 s20, 0
	s_waitcnt lgkmcnt(0)
	s_and_b32 s2, s2, 0xffff
	s_add_i32 s6, s12, -1
	s_mul_i32 s4, s3, s2
	s_mul_i32 s18, s15, s2
	s_lshl_b32 s14, s4, 2
	v_add_nc_u32_e32 v22, s18, v0
	v_cvt_f32_u32_e32 v1, s14
	s_sub_i32 s5, 0, s14
	s_delay_alu instid0(VALU_DEP_1) | instskip(SKIP_2) | instid1(VALU_DEP_1)
	v_rcp_iflag_f32_e32 v1, v1
	s_waitcnt_depctr 0xfff
	v_mul_f32_e32 v1, 0x4f7ffffe, v1
	v_cvt_u32_f32_e32 v1, v1
	s_delay_alu instid0(VALU_DEP_1) | instskip(NEXT) | instid1(VALU_DEP_1)
	v_readfirstlane_b32 s4, v1
	s_mul_i32 s5, s5, s4
	s_delay_alu instid0(SALU_CYCLE_1) | instskip(NEXT) | instid1(SALU_CYCLE_1)
	s_mul_hi_u32 s5, s4, s5
	s_add_i32 s4, s4, s5
	s_delay_alu instid0(SALU_CYCLE_1) | instskip(NEXT) | instid1(SALU_CYCLE_1)
	s_mul_hi_u32 s4, s6, s4
	s_mul_i32 s5, s4, s14
	s_delay_alu instid0(SALU_CYCLE_1)
	s_sub_i32 s5, s6, s5
	s_add_i32 s6, s4, 1
	s_sub_i32 s7, s5, s14
	s_cmp_ge_u32 s5, s14
	s_cselect_b32 s4, s6, s4
	s_cselect_b32 s5, s7, s5
	s_add_i32 s6, s4, 1
	s_cmp_ge_u32 s5, s14
	s_cselect_b32 s4, s6, s4
	s_delay_alu instid0(SALU_CYCLE_1) | instskip(NEXT) | instid1(SALU_CYCLE_1)
	s_add_i32 s4, s4, 1
	s_mul_i32 s19, s14, s4
	s_mov_b32 s4, exec_lo
	v_cmpx_gt_u32_e64 s19, v22
	s_cbranch_execz .LBB0_29
; %bb.1:
	s_load_b128 s[4:7], s[0:1], 0x20
	v_mad_u64_u32 v[1:2], null, 0xcd9e8d57, v22, 0
	v_div_scale_f32 v9, null, s13, s13, 1.0
	v_div_scale_f32 v11, vcc_lo, 1.0, s13, 1.0
	v_mov_b32_e32 v24, 0
	s_delay_alu instid0(VALU_DEP_3) | instskip(SKIP_2) | instid1(SALU_CYCLE_1)
	v_rcp_f32_e32 v10, v9
	v_mov_b32_e32 v16, 0
	s_add_i32 s41, s15, s3
	s_mul_i32 s41, s41, s2
	s_waitcnt lgkmcnt(0)
	v_alignbit_b32 v23, s7, s6, 2
	s_lshr_b32 s7, s7, 2
	s_add_u32 s22, s5, 0xbb67ae85
	v_xor3_b32 v4, s7, s4, v2
	s_add_u32 s21, s4, 0x9e3779b9
	v_mul_lo_u32 v5, 0xd2511f53, v23
	v_readfirstlane_b32 s8, v23
	s_add_u32 s23, s4, 0x3c6ef372
	v_mad_u64_u32 v[2:3], null, 0xd2511f53, v4, 0
	s_add_u32 s24, s5, 0x76cf5d0a
	s_delay_alu instid0(VALU_DEP_2) | instskip(SKIP_4) | instid1(VALU_DEP_1)
	s_mul_hi_u32 s9, s8, 0xd2511f53
	s_add_u32 s25, s5, 0x32370b8f
	s_xor_b64 s[8:9], s[8:9], s[4:5]
	s_add_u32 s26, s4, 0xdaa66d2b
	s_mul_hi_u32 s8, s9, 0xcd9e8d57
	v_xor3_b32 v5, v5, s22, v3
	v_xor3_b32 v1, s8, s21, v1
	s_mul_i32 s8, s9, 0xcd9e8d57
	s_add_u32 s27, s4, 0x78dde6e4
	s_add_u32 s28, s5, 0xed9eba14
	v_mad_u64_u32 v[3:4], null, 0xcd9e8d57, v5, 0
	v_mad_u64_u32 v[5:6], null, 0xd2511f53, v1, 0
	s_add_u32 s29, s5, 0xa9066899
	s_add_u32 s30, s4, 0x1715609d
	;; [unrolled: 1-line block ×4, first 2 shown]
	s_delay_alu instid0(VALU_DEP_2) | instskip(SKIP_1) | instid1(VALU_DEP_2)
	v_xor3_b32 v4, s8, s23, v4
	s_add_u32 s34, s5, 0x1fd5c5a3
	v_xor3_b32 v8, s24, v6, v2
	s_add_u32 s35, s4, 0x5384540f
	s_add_u32 s36, s4, 0xf1bbcdc8
	v_mad_u64_u32 v[1:2], null, 0xd2511f53, v4, 0
	s_delay_alu instid0(VALU_DEP_2)
	v_mad_u64_u32 v[6:7], null, 0xcd9e8d57, v8, 0
	s_clause 0x1
	s_load_b128 s[8:11], s[0:1], 0x0
	s_load_b64 s[16:17], s[0:1], 0x10
	s_add_u32 s37, s5, 0xdb3d7428
	s_add_i32 s39, s4, 0x8ff34781
	s_add_i32 s40, s5, 0x96a522ad
	v_xor3_b32 v4, s25, v2, v5
	s_lshl_b32 s0, s3, 1
	v_xor3_b32 v7, s26, v7, v3
	s_mul_i32 s1, s3, 3
	s_add_i32 s38, s15, s0
	v_mad_u64_u32 v[2:3], null, 0xcd9e8d57, v4, 0
	s_delay_alu instid0(VALU_DEP_2) | instskip(SKIP_4) | instid1(VALU_DEP_2)
	v_mad_u64_u32 v[4:5], null, 0xd2511f53, v7, 0
	s_add_i32 s0, s15, s1
	s_mul_i32 s38, s38, s2
	s_and_b32 s6, s6, 3
	s_mul_i32 s15, s0, s2
	v_xor3_b32 v3, s27, v3, v6
	s_delay_alu instid0(VALU_DEP_2) | instskip(NEXT) | instid1(VALU_DEP_2)
	v_xor3_b32 v1, s28, v5, v1
	v_mad_u64_u32 v[5:6], null, 0xd2511f53, v3, 0
	s_delay_alu instid0(VALU_DEP_2) | instskip(NEXT) | instid1(VALU_DEP_2)
	v_mad_u64_u32 v[7:8], null, 0xcd9e8d57, v1, 0
	v_xor3_b32 v3, s29, v6, v4
	s_delay_alu instid0(VALU_DEP_2) | instskip(NEXT) | instid1(VALU_DEP_2)
	v_xor3_b32 v6, s30, v8, v2
	v_mad_u64_u32 v[1:2], null, 0xcd9e8d57, v3, 0
	s_delay_alu instid0(VALU_DEP_2) | instskip(SKIP_1) | instid1(VALU_DEP_3)
	v_mad_u64_u32 v[3:4], null, 0xd2511f53, v6, 0
	v_fma_f32 v6, -v9, v10, 1.0
	v_xor3_b32 v2, s31, v2, v7
	s_delay_alu instid0(VALU_DEP_2) | instskip(NEXT) | instid1(VALU_DEP_4)
	v_fmac_f32_e32 v10, v6, v10
	v_xor3_b32 v8, s33, v4, v5
	s_delay_alu instid0(VALU_DEP_3) | instskip(NEXT) | instid1(VALU_DEP_2)
	v_mad_u64_u32 v[4:5], null, 0xd2511f53, v2, 0
	v_mad_u64_u32 v[6:7], null, 0xcd9e8d57, v8, 0
	s_delay_alu instid0(VALU_DEP_2) | instskip(NEXT) | instid1(VALU_DEP_2)
	v_xor3_b32 v3, s34, v5, v3
	v_xor3_b32 v5, s35, v7, v1
	s_delay_alu instid0(VALU_DEP_2) | instskip(NEXT) | instid1(VALU_DEP_2)
	v_mad_u64_u32 v[1:2], null, 0xcd9e8d57, v3, 0
	v_mad_u64_u32 v[7:8], null, 0xd2511f53, v5, 0
	s_delay_alu instid0(VALU_DEP_2) | instskip(NEXT) | instid1(VALU_DEP_2)
	v_xor3_b32 v5, s36, v2, v6
	v_xor3_b32 v4, s37, v8, v4
	s_delay_alu instid0(VALU_DEP_2) | instskip(NEXT) | instid1(VALU_DEP_1)
	v_mad_u64_u32 v[2:3], null, 0xd2511f53, v5, 0
	v_dual_mul_f32 v12, v11, v10 :: v_dual_mov_b32 v15, v2
	s_delay_alu instid0(VALU_DEP_1) | instskip(NEXT) | instid1(VALU_DEP_1)
	v_fma_f32 v13, -v9, v12, v11
	v_fmac_f32_e32 v12, v13, v10
	v_mad_u64_u32 v[13:14], null, 0xcd9e8d57, v4, 0
	s_delay_alu instid0(VALU_DEP_2) | instskip(NEXT) | instid1(VALU_DEP_1)
	v_fma_f32 v6, -v9, v12, v11
	v_div_fmas_f32 v4, v6, v10, v12
	s_delay_alu instid0(VALU_DEP_3) | instskip(SKIP_1) | instid1(VALU_DEP_3)
	v_xor3_b32 v12, v14, v1, s39
	v_xor3_b32 v14, v3, v7, s40
	v_div_fixup_f32 v25, v4, s13, 1.0
                                        ; implicit-def: $vgpr1_vgpr2_vgpr3_vgpr4
	s_branch .LBB0_3
.LBB0_2:                                ;   in Loop: Header=BB0_3 Depth=1
	s_or_b32 exec_lo, exec_lo, s1
	v_mov_b32_e32 v8, v17
	v_add_nc_u32_e32 v0, s14, v0
	s_waitcnt vmcnt(0) lgkmcnt(0)
	s_waitcnt_vscnt null, 0x0
	s_barrier
	buffer_gl0_inv
	v_mov_b32_e32 v15, v8
	v_dual_mov_b32 v14, v7 :: v_dual_add_nc_u32 v9, s18, v0
	v_dual_mov_b32 v13, v6 :: v_dual_mov_b32 v12, v5
	s_delay_alu instid0(VALU_DEP_2) | instskip(SKIP_1) | instid1(SALU_CYCLE_1)
	v_cmp_le_u32_e32 vcc_lo, s19, v9
	s_or_b32 s20, vcc_lo, s20
	s_and_not1_b32 exec_lo, exec_lo, s20
	s_cbranch_execz .LBB0_29
.LBB0_3:                                ; =>This Inner Loop Header: Depth=1
	v_add_co_u32 v23, s0, v23, 1
	s_delay_alu instid0(VALU_DEP_1) | instskip(SKIP_2) | instid1(VALU_DEP_2)
	s_cmp_lg_u32 s0, 0
	v_cndmask_b32_e64 v5, 0, 1, s0
	s_addc_u32 s7, s7, 0
	v_mul_hi_u32 v7, 0xd2511f53, v23
	s_cmp_eq_u32 s7, 0
	v_mul_lo_u32 v10, 0xd2511f53, v23
	s_cselect_b32 vcc_lo, -1, 0
	s_cmp_lt_i32 s6, 2
	v_cndmask_b32_e32 v5, 0, v5, vcc_lo
	s_delay_alu instid0(VALU_DEP_3) | instskip(NEXT) | instid1(VALU_DEP_2)
	v_xor_b32_e32 v7, s5, v7
	v_add_nc_u32_e32 v22, v5, v22
	s_delay_alu instid0(VALU_DEP_1) | instskip(SKIP_1) | instid1(VALU_DEP_1)
	v_cmp_eq_u32_e32 vcc_lo, 0, v22
	v_cndmask_b32_e32 v5, 0, v5, vcc_lo
	v_add_nc_u32_e32 v24, v5, v24
	v_mad_u64_u32 v[5:6], null, 0xcd9e8d57, v22, 0
	s_delay_alu instid0(VALU_DEP_2) | instskip(NEXT) | instid1(VALU_DEP_2)
	v_xor_b32_e32 v11, v24, v7
	v_xor3_b32 v8, s7, s4, v6
	s_delay_alu instid0(VALU_DEP_1) | instskip(NEXT) | instid1(VALU_DEP_3)
	v_mad_u64_u32 v[6:7], null, 0xd2511f53, v8, 0
	v_mad_u64_u32 v[8:9], null, 0xcd9e8d57, v11, 0
	s_delay_alu instid0(VALU_DEP_2) | instskip(NEXT) | instid1(VALU_DEP_2)
	v_xor3_b32 v7, v10, s22, v7
	v_xor3_b32 v5, s21, v9, v5
	s_delay_alu instid0(VALU_DEP_2) | instskip(NEXT) | instid1(VALU_DEP_2)
	v_mad_u64_u32 v[9:10], null, 0xcd9e8d57, v7, 0
	v_mad_u64_u32 v[17:18], null, 0xd2511f53, v5, 0
	s_delay_alu instid0(VALU_DEP_2) | instskip(NEXT) | instid1(VALU_DEP_2)
	v_xor3_b32 v7, s23, v10, v8
	v_xor3_b32 v10, s24, v18, v6
	s_delay_alu instid0(VALU_DEP_2) | instskip(NEXT) | instid1(VALU_DEP_2)
	;; [unrolled: 6-line block ×8, first 2 shown]
	v_mad_u64_u32 v[17:18], null, 0xd2511f53, v6, 0
	v_mad_u64_u32 v[6:7], null, 0xcd9e8d57, v8, 0
	s_delay_alu instid0(VALU_DEP_2) | instskip(NEXT) | instid1(VALU_DEP_2)
	v_xor3_b32 v11, v18, v10, s40
	v_xor3_b32 v5, v7, v5, s39
	s_delay_alu instid0(VALU_DEP_2)
	v_mov_b32_e32 v7, v11
	s_cbranch_scc1 .LBB0_6
; %bb.4:                                ;   in Loop: Header=BB0_3 Depth=1
	s_cmp_gt_i32 s6, 2
	s_cbranch_scc0 .LBB0_7
; %bb.5:                                ;   in Loop: Header=BB0_3 Depth=1
	v_dual_mov_b32 v8, v15 :: v_dual_mov_b32 v9, v5
	v_mov_b32_e32 v10, v6
	s_cbranch_execz .LBB0_8
	s_branch .LBB0_9
.LBB0_6:                                ;   in Loop: Header=BB0_3 Depth=1
                                        ; implicit-def: $vgpr8_vgpr9_vgpr10_vgpr11
	s_branch .LBB0_10
.LBB0_7:                                ;   in Loop: Header=BB0_3 Depth=1
                                        ; implicit-def: $vgpr8_vgpr9_vgpr10_vgpr11
.LBB0_8:                                ;   in Loop: Header=BB0_3 Depth=1
	v_dual_mov_b32 v8, v14 :: v_dual_mov_b32 v9, v15
	v_dual_mov_b32 v10, v5 :: v_dual_mov_b32 v11, v6
.LBB0_9:                                ;   in Loop: Header=BB0_3 Depth=1
	s_cbranch_execnz .LBB0_13
.LBB0_10:                               ;   in Loop: Header=BB0_3 Depth=1
	s_cmp_lg_u32 s6, 1
	s_cbranch_scc1 .LBB0_12
; %bb.11:                               ;   in Loop: Header=BB0_3 Depth=1
	v_dual_mov_b32 v12, v13 :: v_dual_mov_b32 v13, v14
	v_dual_mov_b32 v14, v15 :: v_dual_mov_b32 v15, v5
.LBB0_12:                               ;   in Loop: Header=BB0_3 Depth=1
	s_delay_alu instid0(VALU_DEP_2) | instskip(NEXT) | instid1(VALU_DEP_2)
	v_dual_mov_b32 v8, v12 :: v_dual_mov_b32 v9, v13
	v_dual_mov_b32 v10, v14 :: v_dual_mov_b32 v11, v15
.LBB0_13:                               ;   in Loop: Header=BB0_3 Depth=1
	v_add_nc_u32_e32 v15, s18, v0
	s_delay_alu instid0(VALU_DEP_1) | instskip(NEXT) | instid1(VALU_DEP_1)
	v_cmp_gt_u32_e64 s2, s12, v15
	s_and_saveexec_b32 s0, s2
	s_cbranch_execz .LBB0_15
; %bb.14:                               ;   in Loop: Header=BB0_3 Depth=1
	v_lshlrev_b64 v[12:13], 2, v[15:16]
	s_waitcnt lgkmcnt(0)
	s_delay_alu instid0(VALU_DEP_1) | instskip(NEXT) | instid1(VALU_DEP_2)
	v_add_co_u32 v12, vcc_lo, s8, v12
	v_add_co_ci_u32_e32 v13, vcc_lo, s9, v13, vcc_lo
	global_load_b32 v1, v[12:13], off
.LBB0_15:                               ;   in Loop: Header=BB0_3 Depth=1
	s_or_b32 exec_lo, exec_lo, s0
	v_add_nc_u32_e32 v20, s41, v0
	s_delay_alu instid0(VALU_DEP_1) | instskip(NEXT) | instid1(VALU_DEP_1)
	v_cmp_gt_u32_e64 s1, s12, v20
	s_and_saveexec_b32 s0, s1
	s_cbranch_execz .LBB0_17
; %bb.16:                               ;   in Loop: Header=BB0_3 Depth=1
	v_mov_b32_e32 v21, v16
	s_delay_alu instid0(VALU_DEP_1) | instskip(SKIP_1) | instid1(VALU_DEP_1)
	v_lshlrev_b64 v[12:13], 2, v[20:21]
	s_waitcnt lgkmcnt(0)
	v_add_co_u32 v12, vcc_lo, s8, v12
	s_delay_alu instid0(VALU_DEP_2)
	v_add_co_ci_u32_e32 v13, vcc_lo, s9, v13, vcc_lo
	global_load_b32 v2, v[12:13], off
.LBB0_17:                               ;   in Loop: Header=BB0_3 Depth=1
	s_or_b32 exec_lo, exec_lo, s0
	v_add_nc_u32_e32 v18, s38, v0
	s_delay_alu instid0(VALU_DEP_1) | instskip(NEXT) | instid1(VALU_DEP_1)
	v_cmp_gt_u32_e64 s0, s12, v18
	s_and_saveexec_b32 s3, s0
	s_cbranch_execz .LBB0_19
; %bb.18:                               ;   in Loop: Header=BB0_3 Depth=1
	v_mov_b32_e32 v19, v16
	s_delay_alu instid0(VALU_DEP_1) | instskip(SKIP_1) | instid1(VALU_DEP_1)
	v_lshlrev_b64 v[12:13], 2, v[18:19]
	s_waitcnt lgkmcnt(0)
	v_add_co_u32 v12, vcc_lo, s8, v12
	s_delay_alu instid0(VALU_DEP_2)
	v_add_co_ci_u32_e32 v13, vcc_lo, s9, v13, vcc_lo
	global_load_b32 v3, v[12:13], off
.LBB0_19:                               ;   in Loop: Header=BB0_3 Depth=1
	s_or_b32 exec_lo, exec_lo, s3
	v_add_nc_u32_e32 v12, s15, v0
	s_delay_alu instid0(VALU_DEP_1)
	v_cmp_gt_u32_e32 vcc_lo, s12, v12
	s_and_saveexec_b32 s42, vcc_lo
	s_cbranch_execnz .LBB0_24
; %bb.20:                               ;   in Loop: Header=BB0_3 Depth=1
	s_or_b32 exec_lo, exec_lo, s42
	s_and_saveexec_b32 s42, s2
	s_cbranch_execnz .LBB0_25
.LBB0_21:                               ;   in Loop: Header=BB0_3 Depth=1
	s_or_b32 exec_lo, exec_lo, s42
	s_and_saveexec_b32 s3, s1
	s_cbranch_execnz .LBB0_26
.LBB0_22:                               ;   in Loop: Header=BB0_3 Depth=1
	s_or_b32 exec_lo, exec_lo, s3
	s_and_saveexec_b32 s2, s0
	s_cbranch_execnz .LBB0_27
.LBB0_23:                               ;   in Loop: Header=BB0_3 Depth=1
	s_or_b32 exec_lo, exec_lo, s2
	s_and_saveexec_b32 s1, vcc_lo
	s_cbranch_execz .LBB0_2
	s_branch .LBB0_28
.LBB0_24:                               ;   in Loop: Header=BB0_3 Depth=1
	v_mov_b32_e32 v13, v16
	s_delay_alu instid0(VALU_DEP_1) | instskip(SKIP_1) | instid1(VALU_DEP_1)
	v_lshlrev_b64 v[13:14], 2, v[12:13]
	s_waitcnt lgkmcnt(0)
	v_add_co_u32 v13, s3, s8, v13
	s_delay_alu instid0(VALU_DEP_1)
	v_add_co_ci_u32_e64 v14, s3, s9, v14, s3
	global_load_b32 v4, v[13:14], off
	s_or_b32 exec_lo, exec_lo, s42
	s_and_saveexec_b32 s42, s2
	s_cbranch_execz .LBB0_21
.LBB0_25:                               ;   in Loop: Header=BB0_3 Depth=1
	v_cvt_f32_u32_e32 v8, v8
	v_lshlrev_b64 v[13:14], 2, v[15:16]
	s_delay_alu instid0(VALU_DEP_2) | instskip(SKIP_1) | instid1(VALU_DEP_2)
	v_fmaak_f32 v8, 0x2f800000, v8, 0x2f800000
	s_waitcnt lgkmcnt(0)
	v_add_co_u32 v13, s3, s10, v13
	s_delay_alu instid0(VALU_DEP_1) | instskip(NEXT) | instid1(VALU_DEP_3)
	v_add_co_ci_u32_e64 v14, s3, s11, v14, s3
	v_cmp_gt_f32_e64 s2, s13, v8
	s_delay_alu instid0(VALU_DEP_1) | instskip(SKIP_2) | instid1(VALU_DEP_2)
	v_cndmask_b32_e64 v8, 0, 1.0, s2
	v_cndmask_b32_e64 v19, 0, 1, s2
	s_waitcnt vmcnt(0)
	v_mul_f32_e32 v8, v1, v8
	s_delay_alu instid0(VALU_DEP_1)
	v_mul_f32_e32 v8, v25, v8
	global_store_b32 v[13:14], v8, off
	global_store_b8 v15, v19, s[16:17]
	s_or_b32 exec_lo, exec_lo, s42
	s_and_saveexec_b32 s3, s1
	s_cbranch_execz .LBB0_22
.LBB0_26:                               ;   in Loop: Header=BB0_3 Depth=1
	v_cvt_f32_u32_e32 v8, v9
	s_delay_alu instid0(VALU_DEP_1) | instskip(NEXT) | instid1(VALU_DEP_1)
	v_dual_mov_b32 v21, v16 :: v_dual_fmaak_f32 v8, 0x2f800000, v8, 0x2f800000
	v_cmp_gt_f32_e64 s1, s13, v8
	s_delay_alu instid0(VALU_DEP_2) | instskip(NEXT) | instid1(VALU_DEP_2)
	v_lshlrev_b64 v[8:9], 2, v[20:21]
	v_cndmask_b32_e64 v13, 0, 1.0, s1
	v_cndmask_b32_e64 v14, 0, 1, s1
	s_waitcnt lgkmcnt(0)
	s_delay_alu instid0(VALU_DEP_3) | instskip(NEXT) | instid1(VALU_DEP_1)
	v_add_co_u32 v8, s2, s10, v8
	v_add_co_ci_u32_e64 v9, s2, s11, v9, s2
	s_waitcnt vmcnt(0)
	v_mul_f32_e32 v13, v2, v13
	s_delay_alu instid0(VALU_DEP_1)
	v_mul_f32_e32 v13, v25, v13
	global_store_b32 v[8:9], v13, off
	global_store_b8 v20, v14, s[16:17]
	s_or_b32 exec_lo, exec_lo, s3
	s_and_saveexec_b32 s2, s0
	s_cbranch_execz .LBB0_23
.LBB0_27:                               ;   in Loop: Header=BB0_3 Depth=1
	v_cvt_f32_u32_e32 v8, v10
	s_delay_alu instid0(VALU_DEP_1) | instskip(NEXT) | instid1(VALU_DEP_1)
	v_dual_mov_b32 v19, v16 :: v_dual_fmaak_f32 v8, 0x2f800000, v8, 0x2f800000
	v_cmp_gt_f32_e64 s0, s13, v8
	s_delay_alu instid0(VALU_DEP_2) | instskip(NEXT) | instid1(VALU_DEP_2)
	v_lshlrev_b64 v[8:9], 2, v[18:19]
	v_cndmask_b32_e64 v10, 0, 1.0, s0
	v_cndmask_b32_e64 v13, 0, 1, s0
	s_waitcnt lgkmcnt(0)
	s_delay_alu instid0(VALU_DEP_3) | instskip(NEXT) | instid1(VALU_DEP_1)
	v_add_co_u32 v8, s1, s10, v8
	v_add_co_ci_u32_e64 v9, s1, s11, v9, s1
	s_waitcnt vmcnt(0)
	v_mul_f32_e32 v10, v3, v10
	s_delay_alu instid0(VALU_DEP_1)
	v_mul_f32_e32 v10, v25, v10
	global_store_b32 v[8:9], v10, off
	global_store_b8 v18, v13, s[16:17]
	s_or_b32 exec_lo, exec_lo, s2
	s_and_saveexec_b32 s1, vcc_lo
	s_cbranch_execz .LBB0_2
.LBB0_28:                               ;   in Loop: Header=BB0_3 Depth=1
	v_cvt_f32_u32_e32 v8, v11
	s_delay_alu instid0(VALU_DEP_1) | instskip(NEXT) | instid1(VALU_DEP_1)
	v_dual_mov_b32 v13, v16 :: v_dual_fmaak_f32 v8, 0x2f800000, v8, 0x2f800000
	v_cmp_gt_f32_e32 vcc_lo, s13, v8
	s_delay_alu instid0(VALU_DEP_2) | instskip(SKIP_3) | instid1(VALU_DEP_3)
	v_lshlrev_b64 v[8:9], 2, v[12:13]
	v_cndmask_b32_e64 v10, 0, 1.0, vcc_lo
	v_cndmask_b32_e64 v11, 0, 1, vcc_lo
	s_waitcnt lgkmcnt(0)
	v_add_co_u32 v8, s0, s10, v8
	s_delay_alu instid0(VALU_DEP_1) | instskip(SKIP_2) | instid1(VALU_DEP_1)
	v_add_co_ci_u32_e64 v9, s0, s11, v9, s0
	s_waitcnt vmcnt(0)
	v_mul_f32_e32 v10, v4, v10
	v_mul_f32_e32 v10, v25, v10
	global_store_b32 v[8:9], v10, off
	global_store_b8 v12, v11, s[16:17]
	s_branch .LBB0_2
.LBB0_29:
	s_endpgm
	.section	.rodata,"a",@progbits
	.p2align	6, 0x0
	.amdhsa_kernel _Z20fused_dropout_kernelIffjhEvPKT_PS0_PT2_T1_T0_St4pairImmE
		.amdhsa_group_segment_fixed_size 0
		.amdhsa_private_segment_fixed_size 0
		.amdhsa_kernarg_size 304
		.amdhsa_user_sgpr_count 15
		.amdhsa_user_sgpr_dispatch_ptr 0
		.amdhsa_user_sgpr_queue_ptr 0
		.amdhsa_user_sgpr_kernarg_segment_ptr 1
		.amdhsa_user_sgpr_dispatch_id 0
		.amdhsa_user_sgpr_private_segment_size 0
		.amdhsa_wavefront_size32 1
		.amdhsa_uses_dynamic_stack 0
		.amdhsa_enable_private_segment 0
		.amdhsa_system_sgpr_workgroup_id_x 1
		.amdhsa_system_sgpr_workgroup_id_y 0
		.amdhsa_system_sgpr_workgroup_id_z 0
		.amdhsa_system_sgpr_workgroup_info 0
		.amdhsa_system_vgpr_workitem_id 0
		.amdhsa_next_free_vgpr 26
		.amdhsa_next_free_sgpr 43
		.amdhsa_reserve_vcc 1
		.amdhsa_float_round_mode_32 0
		.amdhsa_float_round_mode_16_64 0
		.amdhsa_float_denorm_mode_32 3
		.amdhsa_float_denorm_mode_16_64 3
		.amdhsa_dx10_clamp 1
		.amdhsa_ieee_mode 1
		.amdhsa_fp16_overflow 0
		.amdhsa_workgroup_processor_mode 1
		.amdhsa_memory_ordered 1
		.amdhsa_forward_progress 0
		.amdhsa_shared_vgpr_count 0
		.amdhsa_exception_fp_ieee_invalid_op 0
		.amdhsa_exception_fp_denorm_src 0
		.amdhsa_exception_fp_ieee_div_zero 0
		.amdhsa_exception_fp_ieee_overflow 0
		.amdhsa_exception_fp_ieee_underflow 0
		.amdhsa_exception_fp_ieee_inexact 0
		.amdhsa_exception_int_div_zero 0
	.end_amdhsa_kernel
	.section	.text._Z20fused_dropout_kernelIffjhEvPKT_PS0_PT2_T1_T0_St4pairImmE,"axG",@progbits,_Z20fused_dropout_kernelIffjhEvPKT_PS0_PT2_T1_T0_St4pairImmE,comdat
.Lfunc_end0:
	.size	_Z20fused_dropout_kernelIffjhEvPKT_PS0_PT2_T1_T0_St4pairImmE, .Lfunc_end0-_Z20fused_dropout_kernelIffjhEvPKT_PS0_PT2_T1_T0_St4pairImmE
                                        ; -- End function
	.section	.AMDGPU.csdata,"",@progbits
; Kernel info:
; codeLenInByte = 2552
; NumSgprs: 45
; NumVgprs: 26
; ScratchSize: 0
; MemoryBound: 0
; FloatMode: 240
; IeeeMode: 1
; LDSByteSize: 0 bytes/workgroup (compile time only)
; SGPRBlocks: 5
; VGPRBlocks: 3
; NumSGPRsForWavesPerEU: 45
; NumVGPRsForWavesPerEU: 26
; Occupancy: 16
; WaveLimiterHint : 0
; COMPUTE_PGM_RSRC2:SCRATCH_EN: 0
; COMPUTE_PGM_RSRC2:USER_SGPR: 15
; COMPUTE_PGM_RSRC2:TRAP_HANDLER: 0
; COMPUTE_PGM_RSRC2:TGID_X_EN: 1
; COMPUTE_PGM_RSRC2:TGID_Y_EN: 0
; COMPUTE_PGM_RSRC2:TGID_Z_EN: 0
; COMPUTE_PGM_RSRC2:TIDIG_COMP_CNT: 0
	.section	.text._Z24fused_dropout_kernel_vecIffjhLi2EEvPKT_PS0_PT2_T1_T0_St4pairImmE,"axG",@progbits,_Z24fused_dropout_kernel_vecIffjhLi2EEvPKT_PS0_PT2_T1_T0_St4pairImmE,comdat
	.protected	_Z24fused_dropout_kernel_vecIffjhLi2EEvPKT_PS0_PT2_T1_T0_St4pairImmE ; -- Begin function _Z24fused_dropout_kernel_vecIffjhLi2EEvPKT_PS0_PT2_T1_T0_St4pairImmE
	.globl	_Z24fused_dropout_kernel_vecIffjhLi2EEvPKT_PS0_PT2_T1_T0_St4pairImmE
	.p2align	8
	.type	_Z24fused_dropout_kernel_vecIffjhLi2EEvPKT_PS0_PT2_T1_T0_St4pairImmE,@function
_Z24fused_dropout_kernel_vecIffjhLi2EEvPKT_PS0_PT2_T1_T0_St4pairImmE: ; @_Z24fused_dropout_kernel_vecIffjhLi2EEvPKT_PS0_PT2_T1_T0_St4pairImmE
; %bb.0:
	s_clause 0x1
	s_load_b32 s4, s[0:1], 0x3c
	s_load_b64 s[2:3], s[0:1], 0x18
	s_add_u32 s8, s0, 48
	s_addc_u32 s9, s1, 0
	s_waitcnt lgkmcnt(0)
	s_and_b32 s33, s4, 0xffff
	s_mov_b32 s4, exec_lo
	v_mad_u64_u32 v[11:12], null, s15, s33, v[0:1]
	s_delay_alu instid0(VALU_DEP_1) | instskip(NEXT) | instid1(VALU_DEP_1)
	v_lshlrev_b32_e32 v12, 1, v11
	v_cmpx_gt_u32_e64 s2, v12
	s_cbranch_execz .LBB1_13
; %bb.1:
	s_load_b128 s[4:7], s[0:1], 0x20
	v_mad_u64_u32 v[0:1], null, 0xcd9e8d57, v11, 0
	v_div_scale_f32 v8, null, s3, s3, 1.0
	v_div_scale_f32 v13, vcc_lo, 1.0, s3, 1.0
	s_load_b32 s34, s[8:9], 0x0
	s_delay_alu instid0(VALU_DEP_2)
	v_rcp_f32_e32 v9, v8
	v_mov_b32_e32 v17, 0
	s_waitcnt lgkmcnt(0)
	v_alignbit_b32 v16, s7, s6, 2
	s_lshr_b32 s7, s7, 2
	s_add_u32 s14, s4, 0x9e3779b9
	v_xor3_b32 v3, s7, s4, v1
	s_add_u32 s15, s5, 0xbb67ae85
	v_readfirstlane_b32 s10, v16
	v_mul_lo_u32 v4, 0xd2511f53, v16
	s_add_u32 s16, s4, 0x3c6ef372
	v_mad_u64_u32 v[1:2], null, 0xd2511f53, v3, 0
	s_delay_alu instid0(VALU_DEP_3)
	s_mul_hi_u32 s11, s10, 0xd2511f53
	s_add_u32 s17, s5, 0x76cf5d0a
	s_xor_b64 s[10:11], s[10:11], s[4:5]
	s_add_u32 s18, s5, 0x32370b8f
	s_mul_hi_u32 s10, s11, 0xcd9e8d57
	s_add_u32 s19, s4, 0xdaa66d2b
	s_delay_alu instid0(VALU_DEP_1)
	v_xor3_b32 v4, v4, s15, v2
	v_xor3_b32 v0, s10, s14, v0
	s_mul_i32 s10, s11, 0xcd9e8d57
	s_add_u32 s20, s4, 0x78dde6e4
	s_add_u32 s21, s5, 0xed9eba14
	v_mad_u64_u32 v[2:3], null, 0xcd9e8d57, v4, 0
	v_mad_u64_u32 v[4:5], null, 0xd2511f53, v0, 0
	s_add_u32 s22, s5, 0xa9066899
	s_add_u32 s23, s4, 0x1715609d
	s_add_u32 s24, s4, 0xb54cda56
	s_add_u32 s25, s5, 0x646e171e
	s_delay_alu instid0(VALU_DEP_2) | instskip(SKIP_1) | instid1(VALU_DEP_2)
	v_xor3_b32 v3, s10, s16, v3
	s_add_u32 s26, s5, 0x1fd5c5a3
	v_xor3_b32 v7, s17, v5, v1
	s_add_u32 s27, s4, 0x5384540f
	s_add_u32 s28, s5, 0xdb3d7428
	v_mad_u64_u32 v[0:1], null, 0xd2511f53, v3, 0
	s_delay_alu instid0(VALU_DEP_2)
	v_mad_u64_u32 v[5:6], null, 0xcd9e8d57, v7, 0
	s_add_u32 s29, s4, 0xf1bbcdc8
	s_clause 0x1
	s_load_b128 s[8:11], s[0:1], 0x0
	s_load_b64 s[12:13], s[0:1], 0x10
	s_add_i32 s30, s4, 0x8ff34781
	s_add_i32 s31, s5, 0x96a522ad
	v_xor3_b32 v3, s18, v1, v4
	s_mul_i32 s34, s34, s33
	v_xor3_b32 v6, s19, v6, v2
	s_mov_b32 s1, 0
	s_and_b32 s6, s6, 3
	v_mad_u64_u32 v[1:2], null, 0xcd9e8d57, v3, 0
	s_delay_alu instid0(VALU_DEP_2) | instskip(SKIP_1) | instid1(VALU_DEP_2)
	v_mad_u64_u32 v[3:4], null, 0xd2511f53, v6, 0
	s_lshl_b32 s33, s34, 1
	v_xor3_b32 v2, s20, v2, v5
	s_delay_alu instid0(VALU_DEP_2) | instskip(NEXT) | instid1(VALU_DEP_2)
	v_xor3_b32 v0, s21, v4, v0
	v_mad_u64_u32 v[4:5], null, 0xd2511f53, v2, 0
	s_delay_alu instid0(VALU_DEP_2) | instskip(NEXT) | instid1(VALU_DEP_2)
	v_mad_u64_u32 v[6:7], null, 0xcd9e8d57, v0, 0
	v_xor3_b32 v2, s22, v5, v3
	s_delay_alu instid0(VALU_DEP_2) | instskip(SKIP_1) | instid1(VALU_DEP_3)
	v_xor3_b32 v5, s23, v7, v1
	v_fma_f32 v7, -v8, v9, 1.0
	v_mad_u64_u32 v[0:1], null, 0xcd9e8d57, v2, 0
	s_delay_alu instid0(VALU_DEP_3) | instskip(NEXT) | instid1(VALU_DEP_3)
	v_mad_u64_u32 v[2:3], null, 0xd2511f53, v5, 0
	v_fmac_f32_e32 v9, v7, v9
	s_delay_alu instid0(VALU_DEP_3) | instskip(NEXT) | instid1(VALU_DEP_3)
	v_xor3_b32 v1, s24, v1, v6
	v_xor3_b32 v10, s25, v3, v4
	s_delay_alu instid0(VALU_DEP_2) | instskip(NEXT) | instid1(VALU_DEP_2)
	v_mad_u64_u32 v[3:4], null, 0xd2511f53, v1, 0
	v_mad_u64_u32 v[5:6], null, 0xcd9e8d57, v10, 0
	v_mul_f32_e32 v10, v13, v9
	s_delay_alu instid0(VALU_DEP_3) | instskip(NEXT) | instid1(VALU_DEP_3)
	v_xor3_b32 v2, s26, v4, v2
	v_xor3_b32 v4, s27, v6, v0
	s_delay_alu instid0(VALU_DEP_2) | instskip(NEXT) | instid1(VALU_DEP_2)
	v_mad_u64_u32 v[0:1], null, 0xcd9e8d57, v2, 0
	v_mad_u64_u32 v[6:7], null, 0xd2511f53, v4, 0
	v_fma_f32 v2, -v8, v10, v13
	s_delay_alu instid0(VALU_DEP_3) | instskip(NEXT) | instid1(VALU_DEP_2)
	v_xor3_b32 v1, s29, v1, v5
	v_fmac_f32_e32 v10, v2, v9
	s_delay_alu instid0(VALU_DEP_4) | instskip(NEXT) | instid1(VALU_DEP_3)
	v_xor3_b32 v5, s28, v7, v3
	v_mad_u64_u32 v[3:4], null, 0xd2511f53, v1, 0
	s_delay_alu instid0(VALU_DEP_3) | instskip(SKIP_1) | instid1(VALU_DEP_4)
	v_fma_f32 v7, -v8, v10, v13
	v_mov_b32_e32 v13, 0
	v_mad_u64_u32 v[1:2], null, 0xcd9e8d57, v5, 0
	s_delay_alu instid0(VALU_DEP_3) | instskip(NEXT) | instid1(VALU_DEP_1)
	v_div_fmas_f32 v5, v7, v9, v10
	v_div_fixup_f32 v18, v5, s3, 1.0
	s_delay_alu instid0(VALU_DEP_3)
	v_xor3_b32 v0, v2, v0, s30
	v_xor3_b32 v2, v4, v6, s31
	s_branch .LBB1_4
.LBB1_2:                                ;   in Loop: Header=BB1_4 Depth=1
	v_dual_mov_b32 v10, v3 :: v_dual_mov_b32 v9, v2
	s_delay_alu instid0(VALU_DEP_2)
	v_dual_mov_b32 v8, v1 :: v_dual_mov_b32 v7, v0
.LBB1_3:                                ;   in Loop: Header=BB1_4 Depth=1
	v_lshlrev_b64 v[0:1], 2, v[12:13]
	s_delay_alu instid0(VALU_DEP_2) | instskip(NEXT) | instid1(VALU_DEP_3)
	v_cvt_f32_u32_e32 v8, v8
	v_cvt_f32_u32_e32 v7, v7
	s_delay_alu instid0(VALU_DEP_1) | instskip(SKIP_1) | instid1(VALU_DEP_4)
	v_dual_fmaak_f32 v8, 0x2f800000, v8, 0x2f800000 :: v_dual_fmaak_f32 v7, 0x2f800000, v7, 0x2f800000
	s_waitcnt lgkmcnt(0)
	v_add_co_u32 v2, vcc_lo, s8, v0
	v_add_co_ci_u32_e32 v3, vcc_lo, s9, v1, vcc_lo
	s_delay_alu instid0(VALU_DEP_3)
	v_cmp_gt_f32_e32 vcc_lo, s3, v8
	v_cmp_gt_f32_e64 s0, s3, v7
	global_load_b64 v[2:3], v[2:3], off
	v_cndmask_b32_e64 v7, 0, 1, vcc_lo
	v_cndmask_b32_e64 v10, 0, 1, s0
	v_cndmask_b32_e64 v8, 0, 1.0, vcc_lo
	v_cndmask_b32_e64 v9, 0, 1.0, s0
	s_delay_alu instid0(VALU_DEP_4) | instskip(NEXT) | instid1(VALU_DEP_1)
	v_lshlrev_b16 v7, 8, v7
	v_or_b32_e32 v10, v10, v7
	v_mov_b32_e32 v7, v14
	global_store_b16 v12, v10, s[12:13]
	v_add_nc_u32_e32 v12, s33, v12
	s_waitcnt vmcnt(0)
	v_dual_mul_f32 v2, v2, v9 :: v_dual_mul_f32 v3, v3, v8
	v_add_co_u32 v8, vcc_lo, s10, v0
	v_add_co_ci_u32_e32 v9, vcc_lo, s11, v1, vcc_lo
	v_cmp_le_u32_e32 vcc_lo, s2, v12
	s_delay_alu instid0(VALU_DEP_4)
	v_mul_f32_e32 v14, v18, v2
	v_dual_mul_f32 v15, v18, v3 :: v_dual_mov_b32 v0, v4
	v_dual_mov_b32 v1, v5 :: v_dual_mov_b32 v2, v6
	v_mov_b32_e32 v3, v7
	s_or_b32 s1, vcc_lo, s1
	global_store_b64 v[8:9], v[14:15], off
	s_waitcnt_vscnt null, 0x0
	s_barrier
	buffer_gl0_inv
	s_and_not1_b32 exec_lo, exec_lo, s1
	s_cbranch_execz .LBB1_13
.LBB1_4:                                ; =>This Inner Loop Header: Depth=1
	v_add_co_u32 v16, s0, v16, 1
	s_delay_alu instid0(VALU_DEP_1) | instskip(SKIP_2) | instid1(VALU_DEP_2)
	s_cmp_lg_u32 s0, 0
	v_cndmask_b32_e64 v4, 0, 1, s0
	s_addc_u32 s7, s7, 0
	v_mul_hi_u32 v6, 0xd2511f53, v16
	s_cmp_eq_u32 s7, 0
	v_mul_lo_u32 v10, 0xd2511f53, v16
	s_cselect_b32 vcc_lo, -1, 0
	s_cmp_lt_i32 s6, 2
	v_cndmask_b32_e32 v4, 0, v4, vcc_lo
	s_delay_alu instid0(VALU_DEP_3) | instskip(NEXT) | instid1(VALU_DEP_2)
	v_xor_b32_e32 v6, s5, v6
	v_add_nc_u32_e32 v11, v4, v11
	s_delay_alu instid0(VALU_DEP_1) | instskip(SKIP_1) | instid1(VALU_DEP_1)
	v_cmp_eq_u32_e32 vcc_lo, 0, v11
	v_cndmask_b32_e32 v4, 0, v4, vcc_lo
	v_add_nc_u32_e32 v17, v4, v17
	v_mad_u64_u32 v[4:5], null, 0xcd9e8d57, v11, 0
	s_delay_alu instid0(VALU_DEP_2) | instskip(NEXT) | instid1(VALU_DEP_2)
	v_xor_b32_e32 v7, v17, v6
	v_xor3_b32 v9, s7, s4, v5
	s_delay_alu instid0(VALU_DEP_2) | instskip(NEXT) | instid1(VALU_DEP_2)
	v_mad_u64_u32 v[5:6], null, 0xcd9e8d57, v7, 0
	v_mad_u64_u32 v[7:8], null, 0xd2511f53, v9, 0
	s_delay_alu instid0(VALU_DEP_2) | instskip(NEXT) | instid1(VALU_DEP_2)
	v_xor3_b32 v4, s14, v6, v4
	v_xor3_b32 v6, v10, s15, v8
	s_delay_alu instid0(VALU_DEP_2) | instskip(NEXT) | instid1(VALU_DEP_2)
	v_mad_u64_u32 v[8:9], null, 0xd2511f53, v4, 0
	v_mad_u64_u32 v[14:15], null, 0xcd9e8d57, v6, 0
	s_delay_alu instid0(VALU_DEP_2) | instskip(NEXT) | instid1(VALU_DEP_2)
	v_xor3_b32 v6, s17, v9, v7
	;; [unrolled: 6-line block ×9, first 2 shown]
	v_xor3_b32 v6, v15, v9, s31
	s_cbranch_scc1 .LBB1_7
; %bb.5:                                ;   in Loop: Header=BB1_4 Depth=1
	s_cmp_gt_i32 s6, 2
	s_cbranch_scc0 .LBB1_8
; %bb.6:                                ;   in Loop: Header=BB1_4 Depth=1
	v_dual_mov_b32 v7, v3 :: v_dual_mov_b32 v8, v4
	s_cbranch_execz .LBB1_9
	s_branch .LBB1_10
.LBB1_7:                                ;   in Loop: Header=BB1_4 Depth=1
                                        ; implicit-def: $vgpr7_vgpr8_vgpr9_vgpr10
	s_branch .LBB1_11
.LBB1_8:                                ;   in Loop: Header=BB1_4 Depth=1
                                        ; implicit-def: $vgpr7_vgpr8_vgpr9_vgpr10
.LBB1_9:                                ;   in Loop: Header=BB1_4 Depth=1
	v_dual_mov_b32 v7, v2 :: v_dual_mov_b32 v8, v3
.LBB1_10:                               ;   in Loop: Header=BB1_4 Depth=1
	s_cbranch_execnz .LBB1_3
.LBB1_11:                               ;   in Loop: Header=BB1_4 Depth=1
	s_cmp_lg_u32 s6, 1
	s_cbranch_scc1 .LBB1_2
; %bb.12:                               ;   in Loop: Header=BB1_4 Depth=1
	v_dual_mov_b32 v0, v1 :: v_dual_mov_b32 v1, v2
	s_branch .LBB1_2
.LBB1_13:
	s_endpgm
	.section	.rodata,"a",@progbits
	.p2align	6, 0x0
	.amdhsa_kernel _Z24fused_dropout_kernel_vecIffjhLi2EEvPKT_PS0_PT2_T1_T0_St4pairImmE
		.amdhsa_group_segment_fixed_size 0
		.amdhsa_private_segment_fixed_size 0
		.amdhsa_kernarg_size 304
		.amdhsa_user_sgpr_count 15
		.amdhsa_user_sgpr_dispatch_ptr 0
		.amdhsa_user_sgpr_queue_ptr 0
		.amdhsa_user_sgpr_kernarg_segment_ptr 1
		.amdhsa_user_sgpr_dispatch_id 0
		.amdhsa_user_sgpr_private_segment_size 0
		.amdhsa_wavefront_size32 1
		.amdhsa_uses_dynamic_stack 0
		.amdhsa_enable_private_segment 0
		.amdhsa_system_sgpr_workgroup_id_x 1
		.amdhsa_system_sgpr_workgroup_id_y 0
		.amdhsa_system_sgpr_workgroup_id_z 0
		.amdhsa_system_sgpr_workgroup_info 0
		.amdhsa_system_vgpr_workitem_id 0
		.amdhsa_next_free_vgpr 19
		.amdhsa_next_free_sgpr 35
		.amdhsa_reserve_vcc 1
		.amdhsa_float_round_mode_32 0
		.amdhsa_float_round_mode_16_64 0
		.amdhsa_float_denorm_mode_32 3
		.amdhsa_float_denorm_mode_16_64 3
		.amdhsa_dx10_clamp 1
		.amdhsa_ieee_mode 1
		.amdhsa_fp16_overflow 0
		.amdhsa_workgroup_processor_mode 1
		.amdhsa_memory_ordered 1
		.amdhsa_forward_progress 0
		.amdhsa_shared_vgpr_count 0
		.amdhsa_exception_fp_ieee_invalid_op 0
		.amdhsa_exception_fp_denorm_src 0
		.amdhsa_exception_fp_ieee_div_zero 0
		.amdhsa_exception_fp_ieee_overflow 0
		.amdhsa_exception_fp_ieee_underflow 0
		.amdhsa_exception_fp_ieee_inexact 0
		.amdhsa_exception_int_div_zero 0
	.end_amdhsa_kernel
	.section	.text._Z24fused_dropout_kernel_vecIffjhLi2EEvPKT_PS0_PT2_T1_T0_St4pairImmE,"axG",@progbits,_Z24fused_dropout_kernel_vecIffjhLi2EEvPKT_PS0_PT2_T1_T0_St4pairImmE,comdat
.Lfunc_end1:
	.size	_Z24fused_dropout_kernel_vecIffjhLi2EEvPKT_PS0_PT2_T1_T0_St4pairImmE, .Lfunc_end1-_Z24fused_dropout_kernel_vecIffjhLi2EEvPKT_PS0_PT2_T1_T0_St4pairImmE
                                        ; -- End function
	.section	.AMDGPU.csdata,"",@progbits
; Kernel info:
; codeLenInByte = 1732
; NumSgprs: 37
; NumVgprs: 19
; ScratchSize: 0
; MemoryBound: 0
; FloatMode: 240
; IeeeMode: 1
; LDSByteSize: 0 bytes/workgroup (compile time only)
; SGPRBlocks: 4
; VGPRBlocks: 2
; NumSGPRsForWavesPerEU: 37
; NumVGPRsForWavesPerEU: 19
; Occupancy: 16
; WaveLimiterHint : 0
; COMPUTE_PGM_RSRC2:SCRATCH_EN: 0
; COMPUTE_PGM_RSRC2:USER_SGPR: 15
; COMPUTE_PGM_RSRC2:TRAP_HANDLER: 0
; COMPUTE_PGM_RSRC2:TGID_X_EN: 1
; COMPUTE_PGM_RSRC2:TGID_Y_EN: 0
; COMPUTE_PGM_RSRC2:TGID_Z_EN: 0
; COMPUTE_PGM_RSRC2:TIDIG_COMP_CNT: 0
	.section	.text._Z24fused_dropout_kernel_vecIffjhLi4EEvPKT_PS0_PT2_T1_T0_St4pairImmE,"axG",@progbits,_Z24fused_dropout_kernel_vecIffjhLi4EEvPKT_PS0_PT2_T1_T0_St4pairImmE,comdat
	.protected	_Z24fused_dropout_kernel_vecIffjhLi4EEvPKT_PS0_PT2_T1_T0_St4pairImmE ; -- Begin function _Z24fused_dropout_kernel_vecIffjhLi4EEvPKT_PS0_PT2_T1_T0_St4pairImmE
	.globl	_Z24fused_dropout_kernel_vecIffjhLi4EEvPKT_PS0_PT2_T1_T0_St4pairImmE
	.p2align	8
	.type	_Z24fused_dropout_kernel_vecIffjhLi4EEvPKT_PS0_PT2_T1_T0_St4pairImmE,@function
_Z24fused_dropout_kernel_vecIffjhLi4EEvPKT_PS0_PT2_T1_T0_St4pairImmE: ; @_Z24fused_dropout_kernel_vecIffjhLi4EEvPKT_PS0_PT2_T1_T0_St4pairImmE
; %bb.0:
	s_clause 0x1
	s_load_b32 s4, s[0:1], 0x3c
	s_load_b64 s[12:13], s[0:1], 0x18
	s_add_u32 s2, s0, 48
	s_addc_u32 s3, s1, 0
	s_waitcnt lgkmcnt(0)
	s_and_b32 s35, s4, 0xffff
	s_mov_b32 s4, exec_lo
	v_mad_u64_u32 v[11:12], null, s15, s35, v[0:1]
	s_delay_alu instid0(VALU_DEP_1) | instskip(NEXT) | instid1(VALU_DEP_1)
	v_lshlrev_b32_e32 v12, 2, v11
	v_cmpx_gt_u32_e64 s12, v12
	s_cbranch_execz .LBB2_13
; %bb.1:
	s_load_b128 s[4:7], s[0:1], 0x20
	v_mad_u64_u32 v[0:1], null, 0xcd9e8d57, v11, 0
	v_div_scale_f32 v8, null, s13, s13, 1.0
	v_div_scale_f32 v13, vcc_lo, 1.0, s13, 1.0
	s_load_b32 s2, s[2:3], 0x0
	s_delay_alu instid0(VALU_DEP_2)
	v_rcp_f32_e32 v9, v8
	s_mov_b32 s31, 0
	v_mov_b32_e32 v17, 0
	s_waitcnt lgkmcnt(0)
	v_alignbit_b32 v16, s7, s6, 2
	s_lshr_b32 s7, s7, 2
	s_add_u32 s16, s4, 0x9e3779b9
	v_xor3_b32 v3, s7, s4, v1
	s_add_u32 s17, s5, 0xbb67ae85
	v_readfirstlane_b32 s8, v16
	v_mul_lo_u32 v4, 0xd2511f53, v16
	s_add_u32 s18, s4, 0x3c6ef372
	v_mad_u64_u32 v[1:2], null, 0xd2511f53, v3, 0
	s_delay_alu instid0(VALU_DEP_3)
	s_mul_hi_u32 s9, s8, 0xd2511f53
	s_add_u32 s19, s5, 0x76cf5d0a
	s_xor_b64 s[8:9], s[8:9], s[4:5]
	s_add_u32 s20, s5, 0x32370b8f
	s_mul_hi_u32 s8, s9, 0xcd9e8d57
	s_add_u32 s21, s4, 0xdaa66d2b
	s_delay_alu instid0(VALU_DEP_1)
	v_xor3_b32 v4, v4, s17, v2
	v_xor3_b32 v0, s8, s16, v0
	s_mul_i32 s8, s9, 0xcd9e8d57
	s_add_u32 s22, s4, 0x78dde6e4
	s_add_u32 s23, s5, 0xed9eba14
	v_mad_u64_u32 v[2:3], null, 0xcd9e8d57, v4, 0
	v_mad_u64_u32 v[4:5], null, 0xd2511f53, v0, 0
	s_add_u32 s24, s5, 0xa9066899
	s_add_u32 s25, s4, 0x1715609d
	;; [unrolled: 1-line block ×4, first 2 shown]
	s_delay_alu instid0(VALU_DEP_2) | instskip(SKIP_1) | instid1(VALU_DEP_2)
	v_xor3_b32 v3, s8, s18, v3
	s_add_u32 s28, s5, 0x1fd5c5a3
	v_xor3_b32 v7, s19, v5, v1
	s_add_u32 s29, s4, 0x5384540f
	s_add_u32 s3, s5, 0xdb3d7428
	v_mad_u64_u32 v[0:1], null, 0xd2511f53, v3, 0
	s_delay_alu instid0(VALU_DEP_2)
	v_mad_u64_u32 v[5:6], null, 0xcd9e8d57, v7, 0
	s_add_u32 s30, s4, 0xf1bbcdc8
	s_clause 0x1
	s_load_b128 s[8:11], s[0:1], 0x0
	s_load_b64 s[14:15], s[0:1], 0x10
	s_add_i32 s33, s4, 0x8ff34781
	s_add_i32 s34, s5, 0x96a522ad
	v_xor3_b32 v3, s20, v1, v4
	s_mul_i32 s2, s2, s35
	v_xor3_b32 v6, s21, v6, v2
	s_and_b32 s6, s6, 3
	s_lshl_b32 s35, s2, 2
	v_mad_u64_u32 v[1:2], null, 0xcd9e8d57, v3, 0
	s_delay_alu instid0(VALU_DEP_2) | instskip(NEXT) | instid1(VALU_DEP_2)
	v_mad_u64_u32 v[3:4], null, 0xd2511f53, v6, 0
	v_xor3_b32 v2, s22, v2, v5
	s_delay_alu instid0(VALU_DEP_2) | instskip(NEXT) | instid1(VALU_DEP_2)
	v_xor3_b32 v0, s23, v4, v0
	v_mad_u64_u32 v[4:5], null, 0xd2511f53, v2, 0
	s_delay_alu instid0(VALU_DEP_2) | instskip(NEXT) | instid1(VALU_DEP_2)
	v_mad_u64_u32 v[6:7], null, 0xcd9e8d57, v0, 0
	v_xor3_b32 v2, s24, v5, v3
	s_delay_alu instid0(VALU_DEP_2) | instskip(SKIP_1) | instid1(VALU_DEP_3)
	v_xor3_b32 v5, s25, v7, v1
	v_fma_f32 v7, -v8, v9, 1.0
	v_mad_u64_u32 v[0:1], null, 0xcd9e8d57, v2, 0
	s_delay_alu instid0(VALU_DEP_3) | instskip(NEXT) | instid1(VALU_DEP_3)
	v_mad_u64_u32 v[2:3], null, 0xd2511f53, v5, 0
	v_fmac_f32_e32 v9, v7, v9
	s_delay_alu instid0(VALU_DEP_3) | instskip(NEXT) | instid1(VALU_DEP_3)
	v_xor3_b32 v1, s26, v1, v6
	v_xor3_b32 v10, s27, v3, v4
	s_delay_alu instid0(VALU_DEP_2) | instskip(NEXT) | instid1(VALU_DEP_2)
	v_mad_u64_u32 v[3:4], null, 0xd2511f53, v1, 0
	v_mad_u64_u32 v[5:6], null, 0xcd9e8d57, v10, 0
	v_mul_f32_e32 v10, v13, v9
	s_delay_alu instid0(VALU_DEP_3) | instskip(NEXT) | instid1(VALU_DEP_3)
	v_xor3_b32 v2, s28, v4, v2
	v_xor3_b32 v4, s29, v6, v0
	s_delay_alu instid0(VALU_DEP_2) | instskip(NEXT) | instid1(VALU_DEP_2)
	v_mad_u64_u32 v[0:1], null, 0xcd9e8d57, v2, 0
	v_mad_u64_u32 v[6:7], null, 0xd2511f53, v4, 0
	v_fma_f32 v2, -v8, v10, v13
	s_delay_alu instid0(VALU_DEP_3) | instskip(NEXT) | instid1(VALU_DEP_2)
	v_xor3_b32 v1, s30, v1, v5
	v_fmac_f32_e32 v10, v2, v9
	s_delay_alu instid0(VALU_DEP_4) | instskip(NEXT) | instid1(VALU_DEP_3)
	v_xor3_b32 v5, s3, v7, v3
	v_mad_u64_u32 v[3:4], null, 0xd2511f53, v1, 0
	s_delay_alu instid0(VALU_DEP_3) | instskip(SKIP_1) | instid1(VALU_DEP_4)
	v_fma_f32 v7, -v8, v10, v13
	v_mov_b32_e32 v13, 0
	v_mad_u64_u32 v[1:2], null, 0xcd9e8d57, v5, 0
	s_delay_alu instid0(VALU_DEP_3) | instskip(NEXT) | instid1(VALU_DEP_1)
	v_div_fmas_f32 v5, v7, v9, v10
	v_div_fixup_f32 v18, v5, s13, 1.0
	s_delay_alu instid0(VALU_DEP_3)
	v_xor3_b32 v0, v2, v0, s33
	v_xor3_b32 v2, v4, v6, s34
	s_branch .LBB2_4
.LBB2_2:                                ;   in Loop: Header=BB2_4 Depth=1
	s_delay_alu instid0(VALU_DEP_1) | instskip(NEXT) | instid1(VALU_DEP_3)
	v_dual_mov_b32 v10, v3 :: v_dual_mov_b32 v9, v2
	v_dual_mov_b32 v8, v1 :: v_dual_mov_b32 v7, v0
.LBB2_3:                                ;   in Loop: Header=BB2_4 Depth=1
	v_lshlrev_b64 v[19:20], 2, v[12:13]
	s_delay_alu instid0(VALU_DEP_2) | instskip(NEXT) | instid1(VALU_DEP_3)
	v_cvt_f32_u32_e32 v7, v7
	v_cvt_f32_u32_e32 v8, v8
	;; [unrolled: 1-line block ×4, first 2 shown]
	s_delay_alu instid0(VALU_DEP_3)
	v_dual_fmaak_f32 v7, 0x2f800000, v7, 0x2f800000 :: v_dual_fmaak_f32 v8, 0x2f800000, v8, 0x2f800000
	s_waitcnt lgkmcnt(0)
	v_add_co_u32 v0, vcc_lo, s8, v19
	v_add_co_ci_u32_e32 v1, vcc_lo, s9, v20, vcc_lo
	v_dual_fmaak_f32 v10, 0x2f800000, v10, 0x2f800000 :: v_dual_fmaak_f32 v9, 0x2f800000, v9, 0x2f800000
	v_cmp_gt_f32_e64 s0, s13, v8
	global_load_b128 v[0:3], v[0:1], off
	v_cmp_gt_f32_e32 vcc_lo, s13, v7
	v_cmp_gt_f32_e64 s1, s13, v10
	v_cmp_gt_f32_e64 s2, s13, v9
	v_cndmask_b32_e64 v7, 0, 1, s0
	v_cndmask_b32_e64 v10, 0, 1.0, s0
	v_cndmask_b32_e64 v9, 0, 1, vcc_lo
	v_cndmask_b32_e64 v8, 0, 1, s1
	v_cndmask_b32_e64 v23, 0, 1, s2
	v_lshlrev_b16 v7, 8, v7
	v_cndmask_b32_e64 v22, 0, 1.0, s2
	v_cndmask_b32_e64 v15, 0, 1.0, vcc_lo
	v_lshlrev_b16 v8, 8, v8
	v_cndmask_b32_e64 v21, 0, 1.0, s1
	v_or_b32_e32 v7, v9, v7
	s_delay_alu instid0(VALU_DEP_3) | instskip(NEXT) | instid1(VALU_DEP_2)
	v_or_b32_e32 v8, v23, v8
	v_and_b32_e32 v9, 0xffff, v7
	s_delay_alu instid0(VALU_DEP_2) | instskip(SKIP_2) | instid1(VALU_DEP_2)
	v_dual_mov_b32 v7, v14 :: v_dual_lshlrev_b32 v8, 16, v8
	s_waitcnt vmcnt(0)
	v_mul_f32_e32 v2, v2, v22
	v_or_b32_e32 v14, v9, v8
	v_dual_mul_f32 v0, v0, v15 :: v_dual_mul_f32 v3, v3, v21
	v_mul_f32_e32 v1, v1, v10
	v_add_co_u32 v8, vcc_lo, s10, v19
	global_store_b32 v12, v14, s[14:15]
	v_add_nc_u32_e32 v12, s35, v12
	v_add_co_ci_u32_e32 v9, vcc_lo, s11, v20, vcc_lo
	v_mul_f32_e32 v19, v18, v0
	v_mul_f32_e32 v20, v18, v1
	s_delay_alu instid0(VALU_DEP_4)
	v_cmp_le_u32_e32 vcc_lo, s12, v12
	v_mul_f32_e32 v21, v18, v2
	v_mul_f32_e32 v22, v18, v3
	v_dual_mov_b32 v0, v4 :: v_dual_mov_b32 v3, v7
	v_dual_mov_b32 v1, v5 :: v_dual_mov_b32 v2, v6
	s_or_b32 s31, vcc_lo, s31
	global_store_b128 v[8:9], v[19:22], off
	s_waitcnt_vscnt null, 0x0
	s_barrier
	buffer_gl0_inv
	s_and_not1_b32 exec_lo, exec_lo, s31
	s_cbranch_execz .LBB2_13
.LBB2_4:                                ; =>This Inner Loop Header: Depth=1
	v_add_co_u32 v16, s0, v16, 1
	s_delay_alu instid0(VALU_DEP_1) | instskip(SKIP_2) | instid1(VALU_DEP_2)
	s_cmp_lg_u32 s0, 0
	v_cndmask_b32_e64 v4, 0, 1, s0
	s_addc_u32 s7, s7, 0
	v_mul_hi_u32 v6, 0xd2511f53, v16
	s_cmp_eq_u32 s7, 0
	v_mul_lo_u32 v9, 0xd2511f53, v16
	s_cselect_b32 vcc_lo, -1, 0
	s_cmp_lt_i32 s6, 2
	v_cndmask_b32_e32 v4, 0, v4, vcc_lo
	s_delay_alu instid0(VALU_DEP_3) | instskip(NEXT) | instid1(VALU_DEP_2)
	v_xor_b32_e32 v6, s5, v6
	v_add_nc_u32_e32 v11, v4, v11
	s_delay_alu instid0(VALU_DEP_1) | instskip(SKIP_1) | instid1(VALU_DEP_1)
	v_cmp_eq_u32_e32 vcc_lo, 0, v11
	v_cndmask_b32_e32 v4, 0, v4, vcc_lo
	v_add_nc_u32_e32 v17, v4, v17
	v_mad_u64_u32 v[4:5], null, 0xcd9e8d57, v11, 0
	s_delay_alu instid0(VALU_DEP_2) | instskip(NEXT) | instid1(VALU_DEP_2)
	v_xor_b32_e32 v10, v17, v6
	v_xor3_b32 v7, s7, s4, v5
	s_delay_alu instid0(VALU_DEP_1) | instskip(NEXT) | instid1(VALU_DEP_3)
	v_mad_u64_u32 v[5:6], null, 0xd2511f53, v7, 0
	v_mad_u64_u32 v[7:8], null, 0xcd9e8d57, v10, 0
	s_delay_alu instid0(VALU_DEP_2) | instskip(NEXT) | instid1(VALU_DEP_2)
	v_xor3_b32 v6, v9, s17, v6
	v_xor3_b32 v4, s16, v8, v4
	s_delay_alu instid0(VALU_DEP_2) | instskip(NEXT) | instid1(VALU_DEP_2)
	v_mad_u64_u32 v[8:9], null, 0xcd9e8d57, v6, 0
	v_mad_u64_u32 v[14:15], null, 0xd2511f53, v4, 0
	s_delay_alu instid0(VALU_DEP_2) | instskip(NEXT) | instid1(VALU_DEP_2)
	v_xor3_b32 v6, s18, v9, v7
	v_xor3_b32 v9, s19, v15, v5
	s_delay_alu instid0(VALU_DEP_2) | instskip(NEXT) | instid1(VALU_DEP_2)
	;; [unrolled: 6-line block ×8, first 2 shown]
	v_mad_u64_u32 v[14:15], null, 0xd2511f53, v5, 0
	v_mad_u64_u32 v[5:6], null, 0xcd9e8d57, v7, 0
	s_delay_alu instid0(VALU_DEP_2) | instskip(NEXT) | instid1(VALU_DEP_2)
	v_xor3_b32 v10, v15, v9, s34
	v_xor3_b32 v4, v6, v4, s33
	s_delay_alu instid0(VALU_DEP_2)
	v_mov_b32_e32 v6, v10
	s_cbranch_scc1 .LBB2_7
; %bb.5:                                ;   in Loop: Header=BB2_4 Depth=1
	s_cmp_gt_i32 s6, 2
	s_cbranch_scc0 .LBB2_8
; %bb.6:                                ;   in Loop: Header=BB2_4 Depth=1
	v_dual_mov_b32 v7, v3 :: v_dual_mov_b32 v8, v4
	v_mov_b32_e32 v9, v5
	s_cbranch_execz .LBB2_9
	s_branch .LBB2_10
.LBB2_7:                                ;   in Loop: Header=BB2_4 Depth=1
                                        ; implicit-def: $vgpr7_vgpr8_vgpr9_vgpr10
	s_branch .LBB2_11
.LBB2_8:                                ;   in Loop: Header=BB2_4 Depth=1
                                        ; implicit-def: $vgpr7_vgpr8_vgpr9_vgpr10
.LBB2_9:                                ;   in Loop: Header=BB2_4 Depth=1
	v_dual_mov_b32 v7, v2 :: v_dual_mov_b32 v8, v3
	v_dual_mov_b32 v9, v4 :: v_dual_mov_b32 v10, v5
.LBB2_10:                               ;   in Loop: Header=BB2_4 Depth=1
	s_cbranch_execnz .LBB2_3
.LBB2_11:                               ;   in Loop: Header=BB2_4 Depth=1
	s_cmp_lg_u32 s6, 1
	s_cbranch_scc1 .LBB2_2
; %bb.12:                               ;   in Loop: Header=BB2_4 Depth=1
	v_dual_mov_b32 v0, v1 :: v_dual_mov_b32 v1, v2
	v_dual_mov_b32 v2, v3 :: v_dual_mov_b32 v3, v4
	s_branch .LBB2_2
.LBB2_13:
	s_endpgm
	.section	.rodata,"a",@progbits
	.p2align	6, 0x0
	.amdhsa_kernel _Z24fused_dropout_kernel_vecIffjhLi4EEvPKT_PS0_PT2_T1_T0_St4pairImmE
		.amdhsa_group_segment_fixed_size 0
		.amdhsa_private_segment_fixed_size 0
		.amdhsa_kernarg_size 304
		.amdhsa_user_sgpr_count 15
		.amdhsa_user_sgpr_dispatch_ptr 0
		.amdhsa_user_sgpr_queue_ptr 0
		.amdhsa_user_sgpr_kernarg_segment_ptr 1
		.amdhsa_user_sgpr_dispatch_id 0
		.amdhsa_user_sgpr_private_segment_size 0
		.amdhsa_wavefront_size32 1
		.amdhsa_uses_dynamic_stack 0
		.amdhsa_enable_private_segment 0
		.amdhsa_system_sgpr_workgroup_id_x 1
		.amdhsa_system_sgpr_workgroup_id_y 0
		.amdhsa_system_sgpr_workgroup_id_z 0
		.amdhsa_system_sgpr_workgroup_info 0
		.amdhsa_system_vgpr_workitem_id 0
		.amdhsa_next_free_vgpr 24
		.amdhsa_next_free_sgpr 36
		.amdhsa_reserve_vcc 1
		.amdhsa_float_round_mode_32 0
		.amdhsa_float_round_mode_16_64 0
		.amdhsa_float_denorm_mode_32 3
		.amdhsa_float_denorm_mode_16_64 3
		.amdhsa_dx10_clamp 1
		.amdhsa_ieee_mode 1
		.amdhsa_fp16_overflow 0
		.amdhsa_workgroup_processor_mode 1
		.amdhsa_memory_ordered 1
		.amdhsa_forward_progress 0
		.amdhsa_shared_vgpr_count 0
		.amdhsa_exception_fp_ieee_invalid_op 0
		.amdhsa_exception_fp_denorm_src 0
		.amdhsa_exception_fp_ieee_div_zero 0
		.amdhsa_exception_fp_ieee_overflow 0
		.amdhsa_exception_fp_ieee_underflow 0
		.amdhsa_exception_fp_ieee_inexact 0
		.amdhsa_exception_int_div_zero 0
	.end_amdhsa_kernel
	.section	.text._Z24fused_dropout_kernel_vecIffjhLi4EEvPKT_PS0_PT2_T1_T0_St4pairImmE,"axG",@progbits,_Z24fused_dropout_kernel_vecIffjhLi4EEvPKT_PS0_PT2_T1_T0_St4pairImmE,comdat
.Lfunc_end2:
	.size	_Z24fused_dropout_kernel_vecIffjhLi4EEvPKT_PS0_PT2_T1_T0_St4pairImmE, .Lfunc_end2-_Z24fused_dropout_kernel_vecIffjhLi4EEvPKT_PS0_PT2_T1_T0_St4pairImmE
                                        ; -- End function
	.section	.AMDGPU.csdata,"",@progbits
; Kernel info:
; codeLenInByte = 1872
; NumSgprs: 38
; NumVgprs: 24
; ScratchSize: 0
; MemoryBound: 0
; FloatMode: 240
; IeeeMode: 1
; LDSByteSize: 0 bytes/workgroup (compile time only)
; SGPRBlocks: 4
; VGPRBlocks: 2
; NumSGPRsForWavesPerEU: 38
; NumVGPRsForWavesPerEU: 24
; Occupancy: 16
; WaveLimiterHint : 0
; COMPUTE_PGM_RSRC2:SCRATCH_EN: 0
; COMPUTE_PGM_RSRC2:USER_SGPR: 15
; COMPUTE_PGM_RSRC2:TRAP_HANDLER: 0
; COMPUTE_PGM_RSRC2:TGID_X_EN: 1
; COMPUTE_PGM_RSRC2:TGID_Y_EN: 0
; COMPUTE_PGM_RSRC2:TGID_Z_EN: 0
; COMPUTE_PGM_RSRC2:TIDIG_COMP_CNT: 0
	.text
	.p2alignl 7, 3214868480
	.fill 96, 4, 3214868480
	.type	__hip_cuid_ec33e36435dc8a5b,@object ; @__hip_cuid_ec33e36435dc8a5b
	.section	.bss,"aw",@nobits
	.globl	__hip_cuid_ec33e36435dc8a5b
__hip_cuid_ec33e36435dc8a5b:
	.byte	0                               ; 0x0
	.size	__hip_cuid_ec33e36435dc8a5b, 1

	.ident	"AMD clang version 19.0.0git (https://github.com/RadeonOpenCompute/llvm-project roc-6.4.0 25133 c7fe45cf4b819c5991fe208aaa96edf142730f1d)"
	.section	".note.GNU-stack","",@progbits
	.addrsig
	.addrsig_sym __hip_cuid_ec33e36435dc8a5b
	.amdgpu_metadata
---
amdhsa.kernels:
  - .args:
      - .actual_access:  read_only
        .address_space:  global
        .offset:         0
        .size:           8
        .value_kind:     global_buffer
      - .actual_access:  write_only
        .address_space:  global
        .offset:         8
        .size:           8
        .value_kind:     global_buffer
      - .actual_access:  write_only
        .address_space:  global
        .offset:         16
        .size:           8
        .value_kind:     global_buffer
      - .offset:         24
        .size:           4
        .value_kind:     by_value
      - .offset:         28
        .size:           4
        .value_kind:     by_value
      - .offset:         32
        .size:           16
        .value_kind:     by_value
      - .offset:         48
        .size:           4
        .value_kind:     hidden_block_count_x
      - .offset:         52
        .size:           4
        .value_kind:     hidden_block_count_y
      - .offset:         56
        .size:           4
        .value_kind:     hidden_block_count_z
      - .offset:         60
        .size:           2
        .value_kind:     hidden_group_size_x
      - .offset:         62
        .size:           2
        .value_kind:     hidden_group_size_y
      - .offset:         64
        .size:           2
        .value_kind:     hidden_group_size_z
      - .offset:         66
        .size:           2
        .value_kind:     hidden_remainder_x
      - .offset:         68
        .size:           2
        .value_kind:     hidden_remainder_y
      - .offset:         70
        .size:           2
        .value_kind:     hidden_remainder_z
      - .offset:         88
        .size:           8
        .value_kind:     hidden_global_offset_x
      - .offset:         96
        .size:           8
        .value_kind:     hidden_global_offset_y
      - .offset:         104
        .size:           8
        .value_kind:     hidden_global_offset_z
      - .offset:         112
        .size:           2
        .value_kind:     hidden_grid_dims
    .group_segment_fixed_size: 0
    .kernarg_segment_align: 8
    .kernarg_segment_size: 304
    .language:       OpenCL C
    .language_version:
      - 2
      - 0
    .max_flat_workgroup_size: 1024
    .name:           _Z20fused_dropout_kernelIffjhEvPKT_PS0_PT2_T1_T0_St4pairImmE
    .private_segment_fixed_size: 0
    .sgpr_count:     45
    .sgpr_spill_count: 0
    .symbol:         _Z20fused_dropout_kernelIffjhEvPKT_PS0_PT2_T1_T0_St4pairImmE.kd
    .uniform_work_group_size: 1
    .uses_dynamic_stack: false
    .vgpr_count:     26
    .vgpr_spill_count: 0
    .wavefront_size: 32
    .workgroup_processor_mode: 1
  - .args:
      - .actual_access:  read_only
        .address_space:  global
        .offset:         0
        .size:           8
        .value_kind:     global_buffer
      - .actual_access:  write_only
        .address_space:  global
        .offset:         8
        .size:           8
        .value_kind:     global_buffer
      - .actual_access:  write_only
        .address_space:  global
        .offset:         16
        .size:           8
        .value_kind:     global_buffer
      - .offset:         24
        .size:           4
        .value_kind:     by_value
      - .offset:         28
        .size:           4
        .value_kind:     by_value
      - .offset:         32
        .size:           16
        .value_kind:     by_value
      - .offset:         48
        .size:           4
        .value_kind:     hidden_block_count_x
      - .offset:         52
        .size:           4
        .value_kind:     hidden_block_count_y
      - .offset:         56
        .size:           4
        .value_kind:     hidden_block_count_z
      - .offset:         60
        .size:           2
        .value_kind:     hidden_group_size_x
      - .offset:         62
        .size:           2
        .value_kind:     hidden_group_size_y
      - .offset:         64
        .size:           2
        .value_kind:     hidden_group_size_z
      - .offset:         66
        .size:           2
        .value_kind:     hidden_remainder_x
      - .offset:         68
        .size:           2
        .value_kind:     hidden_remainder_y
      - .offset:         70
        .size:           2
        .value_kind:     hidden_remainder_z
      - .offset:         88
        .size:           8
        .value_kind:     hidden_global_offset_x
      - .offset:         96
        .size:           8
        .value_kind:     hidden_global_offset_y
      - .offset:         104
        .size:           8
        .value_kind:     hidden_global_offset_z
      - .offset:         112
        .size:           2
        .value_kind:     hidden_grid_dims
    .group_segment_fixed_size: 0
    .kernarg_segment_align: 8
    .kernarg_segment_size: 304
    .language:       OpenCL C
    .language_version:
      - 2
      - 0
    .max_flat_workgroup_size: 1024
    .name:           _Z24fused_dropout_kernel_vecIffjhLi2EEvPKT_PS0_PT2_T1_T0_St4pairImmE
    .private_segment_fixed_size: 0
    .sgpr_count:     37
    .sgpr_spill_count: 0
    .symbol:         _Z24fused_dropout_kernel_vecIffjhLi2EEvPKT_PS0_PT2_T1_T0_St4pairImmE.kd
    .uniform_work_group_size: 1
    .uses_dynamic_stack: false
    .vgpr_count:     19
    .vgpr_spill_count: 0
    .wavefront_size: 32
    .workgroup_processor_mode: 1
  - .args:
      - .actual_access:  read_only
        .address_space:  global
        .offset:         0
        .size:           8
        .value_kind:     global_buffer
      - .actual_access:  write_only
        .address_space:  global
        .offset:         8
        .size:           8
        .value_kind:     global_buffer
      - .actual_access:  write_only
        .address_space:  global
        .offset:         16
        .size:           8
        .value_kind:     global_buffer
      - .offset:         24
        .size:           4
        .value_kind:     by_value
      - .offset:         28
        .size:           4
        .value_kind:     by_value
      - .offset:         32
        .size:           16
        .value_kind:     by_value
      - .offset:         48
        .size:           4
        .value_kind:     hidden_block_count_x
      - .offset:         52
        .size:           4
        .value_kind:     hidden_block_count_y
      - .offset:         56
        .size:           4
        .value_kind:     hidden_block_count_z
      - .offset:         60
        .size:           2
        .value_kind:     hidden_group_size_x
      - .offset:         62
        .size:           2
        .value_kind:     hidden_group_size_y
      - .offset:         64
        .size:           2
        .value_kind:     hidden_group_size_z
      - .offset:         66
        .size:           2
        .value_kind:     hidden_remainder_x
      - .offset:         68
        .size:           2
        .value_kind:     hidden_remainder_y
      - .offset:         70
        .size:           2
        .value_kind:     hidden_remainder_z
      - .offset:         88
        .size:           8
        .value_kind:     hidden_global_offset_x
      - .offset:         96
        .size:           8
        .value_kind:     hidden_global_offset_y
      - .offset:         104
        .size:           8
        .value_kind:     hidden_global_offset_z
      - .offset:         112
        .size:           2
        .value_kind:     hidden_grid_dims
    .group_segment_fixed_size: 0
    .kernarg_segment_align: 8
    .kernarg_segment_size: 304
    .language:       OpenCL C
    .language_version:
      - 2
      - 0
    .max_flat_workgroup_size: 1024
    .name:           _Z24fused_dropout_kernel_vecIffjhLi4EEvPKT_PS0_PT2_T1_T0_St4pairImmE
    .private_segment_fixed_size: 0
    .sgpr_count:     38
    .sgpr_spill_count: 0
    .symbol:         _Z24fused_dropout_kernel_vecIffjhLi4EEvPKT_PS0_PT2_T1_T0_St4pairImmE.kd
    .uniform_work_group_size: 1
    .uses_dynamic_stack: false
    .vgpr_count:     24
    .vgpr_spill_count: 0
    .wavefront_size: 32
    .workgroup_processor_mode: 1
amdhsa.target:   amdgcn-amd-amdhsa--gfx1100
amdhsa.version:
  - 1
  - 2
...

	.end_amdgpu_metadata
